;; amdgpu-corpus repo=ROCm/rocFFT kind=compiled arch=gfx1201 opt=O3
	.text
	.amdgcn_target "amdgcn-amd-amdhsa--gfx1201"
	.amdhsa_code_object_version 6
	.protected	fft_rtc_back_len102_factors_17_6_wgs_119_tpt_17_halfLds_half_ip_CI_unitstride_sbrr_C2R_dirReg ; -- Begin function fft_rtc_back_len102_factors_17_6_wgs_119_tpt_17_halfLds_half_ip_CI_unitstride_sbrr_C2R_dirReg
	.globl	fft_rtc_back_len102_factors_17_6_wgs_119_tpt_17_halfLds_half_ip_CI_unitstride_sbrr_C2R_dirReg
	.p2align	8
	.type	fft_rtc_back_len102_factors_17_6_wgs_119_tpt_17_halfLds_half_ip_CI_unitstride_sbrr_C2R_dirReg,@function
fft_rtc_back_len102_factors_17_6_wgs_119_tpt_17_halfLds_half_ip_CI_unitstride_sbrr_C2R_dirReg: ; @fft_rtc_back_len102_factors_17_6_wgs_119_tpt_17_halfLds_half_ip_CI_unitstride_sbrr_C2R_dirReg
; %bb.0:
	s_load_b128 s[4:7], s[0:1], 0x0
	v_mul_u32_u24_e32 v1, 0xf10, v0
	s_clause 0x1
	s_load_b64 s[8:9], s[0:1], 0x50
	s_load_b64 s[10:11], s[0:1], 0x18
	v_mov_b32_e32 v5, 0
	v_lshrrev_b32_e32 v1, 16, v1
	s_delay_alu instid0(VALU_DEP_1) | instskip(SKIP_3) | instid1(VALU_DEP_1)
	v_mad_co_u64_u32 v[1:2], null, ttmp9, 7, v[1:2]
	v_mov_b32_e32 v3, 0
	v_mov_b32_e32 v4, 0
	;; [unrolled: 1-line block ×4, first 2 shown]
	s_wait_kmcnt 0x0
	v_cmp_lt_u64_e64 s2, s[6:7], 2
	v_mov_b32_e32 v9, v1
	s_delay_alu instid0(VALU_DEP_2)
	s_and_b32 vcc_lo, exec_lo, s2
	s_cbranch_vccnz .LBB0_8
; %bb.1:
	s_load_b64 s[2:3], s[0:1], 0x10
	v_dual_mov_b32 v3, 0 :: v_dual_mov_b32 v8, v2
	v_dual_mov_b32 v4, 0 :: v_dual_mov_b32 v7, v1
	s_add_nc_u64 s[12:13], s[10:11], 8
	s_mov_b64 s[14:15], 1
	s_wait_kmcnt 0x0
	s_add_nc_u64 s[16:17], s[2:3], 8
	s_mov_b32 s3, 0
.LBB0_2:                                ; =>This Inner Loop Header: Depth=1
	s_load_b64 s[18:19], s[16:17], 0x0
                                        ; implicit-def: $vgpr9_vgpr10
	s_mov_b32 s2, exec_lo
	s_wait_kmcnt 0x0
	v_or_b32_e32 v6, s19, v8
	s_delay_alu instid0(VALU_DEP_1)
	v_cmpx_ne_u64_e32 0, v[5:6]
	s_wait_alu 0xfffe
	s_xor_b32 s20, exec_lo, s2
	s_cbranch_execz .LBB0_4
; %bb.3:                                ;   in Loop: Header=BB0_2 Depth=1
	s_cvt_f32_u32 s2, s18
	s_cvt_f32_u32 s21, s19
	s_sub_nc_u64 s[24:25], 0, s[18:19]
	s_wait_alu 0xfffe
	s_delay_alu instid0(SALU_CYCLE_1) | instskip(SKIP_1) | instid1(SALU_CYCLE_2)
	s_fmamk_f32 s2, s21, 0x4f800000, s2
	s_wait_alu 0xfffe
	v_s_rcp_f32 s2, s2
	s_delay_alu instid0(TRANS32_DEP_1) | instskip(SKIP_1) | instid1(SALU_CYCLE_2)
	s_mul_f32 s2, s2, 0x5f7ffffc
	s_wait_alu 0xfffe
	s_mul_f32 s21, s2, 0x2f800000
	s_wait_alu 0xfffe
	s_delay_alu instid0(SALU_CYCLE_2) | instskip(SKIP_1) | instid1(SALU_CYCLE_2)
	s_trunc_f32 s21, s21
	s_wait_alu 0xfffe
	s_fmamk_f32 s2, s21, 0xcf800000, s2
	s_cvt_u32_f32 s23, s21
	s_wait_alu 0xfffe
	s_delay_alu instid0(SALU_CYCLE_1) | instskip(SKIP_1) | instid1(SALU_CYCLE_2)
	s_cvt_u32_f32 s22, s2
	s_wait_alu 0xfffe
	s_mul_u64 s[26:27], s[24:25], s[22:23]
	s_wait_alu 0xfffe
	s_mul_hi_u32 s29, s22, s27
	s_mul_i32 s28, s22, s27
	s_mul_hi_u32 s2, s22, s26
	s_mul_i32 s30, s23, s26
	s_wait_alu 0xfffe
	s_add_nc_u64 s[28:29], s[2:3], s[28:29]
	s_mul_hi_u32 s21, s23, s26
	s_mul_hi_u32 s31, s23, s27
	s_add_co_u32 s2, s28, s30
	s_wait_alu 0xfffe
	s_add_co_ci_u32 s2, s29, s21
	s_mul_i32 s26, s23, s27
	s_add_co_ci_u32 s27, s31, 0
	s_wait_alu 0xfffe
	s_add_nc_u64 s[26:27], s[2:3], s[26:27]
	s_wait_alu 0xfffe
	v_add_co_u32 v2, s2, s22, s26
	s_delay_alu instid0(VALU_DEP_1) | instskip(SKIP_1) | instid1(VALU_DEP_1)
	s_cmp_lg_u32 s2, 0
	s_add_co_ci_u32 s23, s23, s27
	v_readfirstlane_b32 s22, v2
	s_wait_alu 0xfffe
	s_delay_alu instid0(VALU_DEP_1)
	s_mul_u64 s[24:25], s[24:25], s[22:23]
	s_wait_alu 0xfffe
	s_mul_hi_u32 s27, s22, s25
	s_mul_i32 s26, s22, s25
	s_mul_hi_u32 s2, s22, s24
	s_mul_i32 s28, s23, s24
	s_wait_alu 0xfffe
	s_add_nc_u64 s[26:27], s[2:3], s[26:27]
	s_mul_hi_u32 s21, s23, s24
	s_mul_hi_u32 s22, s23, s25
	s_wait_alu 0xfffe
	s_add_co_u32 s2, s26, s28
	s_add_co_ci_u32 s2, s27, s21
	s_mul_i32 s24, s23, s25
	s_add_co_ci_u32 s25, s22, 0
	s_wait_alu 0xfffe
	s_add_nc_u64 s[24:25], s[2:3], s[24:25]
	s_wait_alu 0xfffe
	v_add_co_u32 v2, s2, v2, s24
	s_delay_alu instid0(VALU_DEP_1) | instskip(SKIP_1) | instid1(VALU_DEP_1)
	s_cmp_lg_u32 s2, 0
	s_add_co_ci_u32 s2, s23, s25
	v_mul_hi_u32 v6, v7, v2
	s_wait_alu 0xfffe
	v_mad_co_u64_u32 v[9:10], null, v7, s2, 0
	v_mad_co_u64_u32 v[11:12], null, v8, v2, 0
	;; [unrolled: 1-line block ×3, first 2 shown]
	s_delay_alu instid0(VALU_DEP_3) | instskip(SKIP_1) | instid1(VALU_DEP_4)
	v_add_co_u32 v2, vcc_lo, v6, v9
	s_wait_alu 0xfffd
	v_add_co_ci_u32_e32 v6, vcc_lo, 0, v10, vcc_lo
	s_delay_alu instid0(VALU_DEP_2) | instskip(SKIP_1) | instid1(VALU_DEP_2)
	v_add_co_u32 v2, vcc_lo, v2, v11
	s_wait_alu 0xfffd
	v_add_co_ci_u32_e32 v2, vcc_lo, v6, v12, vcc_lo
	s_wait_alu 0xfffd
	v_add_co_ci_u32_e32 v6, vcc_lo, 0, v14, vcc_lo
	s_delay_alu instid0(VALU_DEP_2) | instskip(SKIP_1) | instid1(VALU_DEP_2)
	v_add_co_u32 v2, vcc_lo, v2, v13
	s_wait_alu 0xfffd
	v_add_co_ci_u32_e32 v6, vcc_lo, 0, v6, vcc_lo
	s_delay_alu instid0(VALU_DEP_2) | instskip(SKIP_1) | instid1(VALU_DEP_3)
	v_mul_lo_u32 v11, s19, v2
	v_mad_co_u64_u32 v[9:10], null, s18, v2, 0
	v_mul_lo_u32 v12, s18, v6
	s_delay_alu instid0(VALU_DEP_2) | instskip(NEXT) | instid1(VALU_DEP_2)
	v_sub_co_u32 v9, vcc_lo, v7, v9
	v_add3_u32 v10, v10, v12, v11
	s_delay_alu instid0(VALU_DEP_1) | instskip(SKIP_1) | instid1(VALU_DEP_1)
	v_sub_nc_u32_e32 v11, v8, v10
	s_wait_alu 0xfffd
	v_subrev_co_ci_u32_e64 v11, s2, s19, v11, vcc_lo
	v_add_co_u32 v12, s2, v2, 2
	s_wait_alu 0xf1ff
	v_add_co_ci_u32_e64 v13, s2, 0, v6, s2
	v_sub_co_u32 v14, s2, v9, s18
	v_sub_co_ci_u32_e32 v10, vcc_lo, v8, v10, vcc_lo
	s_wait_alu 0xf1ff
	v_subrev_co_ci_u32_e64 v11, s2, 0, v11, s2
	s_delay_alu instid0(VALU_DEP_3) | instskip(NEXT) | instid1(VALU_DEP_3)
	v_cmp_le_u32_e32 vcc_lo, s18, v14
	v_cmp_eq_u32_e64 s2, s19, v10
	s_wait_alu 0xfffd
	v_cndmask_b32_e64 v14, 0, -1, vcc_lo
	v_cmp_le_u32_e32 vcc_lo, s19, v11
	s_wait_alu 0xfffd
	v_cndmask_b32_e64 v15, 0, -1, vcc_lo
	v_cmp_le_u32_e32 vcc_lo, s18, v9
	;; [unrolled: 3-line block ×3, first 2 shown]
	s_wait_alu 0xfffd
	v_cndmask_b32_e64 v16, 0, -1, vcc_lo
	v_cmp_eq_u32_e32 vcc_lo, s19, v11
	s_wait_alu 0xf1ff
	s_delay_alu instid0(VALU_DEP_2)
	v_cndmask_b32_e64 v9, v16, v9, s2
	s_wait_alu 0xfffd
	v_cndmask_b32_e32 v11, v15, v14, vcc_lo
	v_add_co_u32 v14, vcc_lo, v2, 1
	s_wait_alu 0xfffd
	v_add_co_ci_u32_e32 v15, vcc_lo, 0, v6, vcc_lo
	s_delay_alu instid0(VALU_DEP_3) | instskip(SKIP_1) | instid1(VALU_DEP_2)
	v_cmp_ne_u32_e32 vcc_lo, 0, v11
	s_wait_alu 0xfffd
	v_dual_cndmask_b32 v10, v15, v13 :: v_dual_cndmask_b32 v11, v14, v12
	v_cmp_ne_u32_e32 vcc_lo, 0, v9
	s_wait_alu 0xfffd
	s_delay_alu instid0(VALU_DEP_2) | instskip(NEXT) | instid1(VALU_DEP_3)
	v_cndmask_b32_e32 v10, v6, v10, vcc_lo
	v_cndmask_b32_e32 v9, v2, v11, vcc_lo
.LBB0_4:                                ;   in Loop: Header=BB0_2 Depth=1
	s_wait_alu 0xfffe
	s_and_not1_saveexec_b32 s2, s20
	s_cbranch_execz .LBB0_6
; %bb.5:                                ;   in Loop: Header=BB0_2 Depth=1
	v_cvt_f32_u32_e32 v2, s18
	s_sub_co_i32 s20, 0, s18
	s_delay_alu instid0(VALU_DEP_1) | instskip(NEXT) | instid1(TRANS32_DEP_1)
	v_rcp_iflag_f32_e32 v2, v2
	v_mul_f32_e32 v2, 0x4f7ffffe, v2
	s_delay_alu instid0(VALU_DEP_1) | instskip(SKIP_1) | instid1(VALU_DEP_1)
	v_cvt_u32_f32_e32 v2, v2
	s_wait_alu 0xfffe
	v_mul_lo_u32 v6, s20, v2
	s_delay_alu instid0(VALU_DEP_1) | instskip(NEXT) | instid1(VALU_DEP_1)
	v_mul_hi_u32 v6, v2, v6
	v_add_nc_u32_e32 v2, v2, v6
	s_delay_alu instid0(VALU_DEP_1) | instskip(NEXT) | instid1(VALU_DEP_1)
	v_mul_hi_u32 v2, v7, v2
	v_mul_lo_u32 v6, v2, s18
	v_add_nc_u32_e32 v9, 1, v2
	s_delay_alu instid0(VALU_DEP_2) | instskip(NEXT) | instid1(VALU_DEP_1)
	v_sub_nc_u32_e32 v6, v7, v6
	v_subrev_nc_u32_e32 v10, s18, v6
	v_cmp_le_u32_e32 vcc_lo, s18, v6
	s_wait_alu 0xfffd
	s_delay_alu instid0(VALU_DEP_2) | instskip(SKIP_2) | instid1(VALU_DEP_3)
	v_cndmask_b32_e32 v6, v6, v10, vcc_lo
	v_mov_b32_e32 v10, v5
	v_cndmask_b32_e32 v2, v2, v9, vcc_lo
	v_cmp_le_u32_e32 vcc_lo, s18, v6
	s_delay_alu instid0(VALU_DEP_2) | instskip(SKIP_1) | instid1(VALU_DEP_1)
	v_add_nc_u32_e32 v9, 1, v2
	s_wait_alu 0xfffd
	v_cndmask_b32_e32 v9, v2, v9, vcc_lo
.LBB0_6:                                ;   in Loop: Header=BB0_2 Depth=1
	s_wait_alu 0xfffe
	s_or_b32 exec_lo, exec_lo, s2
	s_load_b64 s[20:21], s[12:13], 0x0
	v_mul_lo_u32 v2, v10, s18
	v_mul_lo_u32 v6, v9, s19
	v_mad_co_u64_u32 v[11:12], null, v9, s18, 0
	s_add_nc_u64 s[14:15], s[14:15], 1
	s_add_nc_u64 s[12:13], s[12:13], 8
	s_wait_alu 0xfffe
	v_cmp_ge_u64_e64 s2, s[14:15], s[6:7]
	s_add_nc_u64 s[16:17], s[16:17], 8
	s_delay_alu instid0(VALU_DEP_2) | instskip(NEXT) | instid1(VALU_DEP_3)
	v_add3_u32 v2, v12, v6, v2
	v_sub_co_u32 v6, vcc_lo, v7, v11
	s_wait_alu 0xfffd
	s_delay_alu instid0(VALU_DEP_2) | instskip(SKIP_3) | instid1(VALU_DEP_2)
	v_sub_co_ci_u32_e32 v2, vcc_lo, v8, v2, vcc_lo
	s_and_b32 vcc_lo, exec_lo, s2
	s_wait_kmcnt 0x0
	v_mul_lo_u32 v7, s21, v6
	v_mul_lo_u32 v2, s20, v2
	v_mad_co_u64_u32 v[3:4], null, s20, v6, v[3:4]
	s_delay_alu instid0(VALU_DEP_1)
	v_add3_u32 v4, v7, v4, v2
	s_wait_alu 0xfffe
	s_cbranch_vccnz .LBB0_8
; %bb.7:                                ;   in Loop: Header=BB0_2 Depth=1
	v_dual_mov_b32 v7, v9 :: v_dual_mov_b32 v8, v10
	s_branch .LBB0_2
.LBB0_8:
	v_mul_hi_u32 v2, 0x24924925, v1
	s_lshl_b64 s[2:3], s[6:7], 3
	s_load_b64 s[0:1], s[0:1], 0x20
	s_add_nc_u64 s[2:3], s[10:11], s[2:3]
	v_mul_hi_u32 v8, 0xf0f0f10, v0
	s_load_b64 s[2:3], s[2:3], 0x0
	s_delay_alu instid0(VALU_DEP_2) | instskip(NEXT) | instid1(VALU_DEP_1)
	v_sub_nc_u32_e32 v5, v1, v2
	v_lshrrev_b32_e32 v5, 1, v5
	s_delay_alu instid0(VALU_DEP_1) | instskip(SKIP_2) | instid1(VALU_DEP_2)
	v_add_nc_u32_e32 v2, v5, v2
	s_wait_kmcnt 0x0
	v_cmp_gt_u64_e32 vcc_lo, s[0:1], v[9:10]
	v_lshrrev_b32_e32 v2, 2, v2
	v_mul_lo_u32 v5, s2, v10
	v_mul_lo_u32 v7, s3, v9
	s_delay_alu instid0(VALU_DEP_3) | instskip(SKIP_2) | instid1(VALU_DEP_1)
	v_mul_lo_u32 v6, v2, 7
	v_mad_co_u64_u32 v[2:3], null, s2, v9, v[3:4]
	v_mul_u32_u24_e32 v4, 17, v8
	v_sub_nc_u32_e32 v0, v0, v4
	s_delay_alu instid0(VALU_DEP_4) | instskip(NEXT) | instid1(VALU_DEP_4)
	v_sub_nc_u32_e32 v1, v1, v6
	v_add3_u32 v3, v7, v3, v5
	s_delay_alu instid0(VALU_DEP_2) | instskip(NEXT) | instid1(VALU_DEP_2)
	v_mul_u32_u24_e32 v6, 0x67, v1
	v_lshlrev_b64_e32 v[2:3], 2, v[2:3]
	s_delay_alu instid0(VALU_DEP_2)
	v_lshlrev_b32_e32 v36, 2, v6
	s_and_saveexec_b32 s1, vcc_lo
	s_cbranch_execz .LBB0_12
; %bb.9:
	v_mov_b32_e32 v1, 0
	s_delay_alu instid0(VALU_DEP_3) | instskip(SKIP_2) | instid1(VALU_DEP_3)
	v_add_co_u32 v4, s0, s8, v2
	s_wait_alu 0xf1ff
	v_add_co_ci_u32_e64 v5, s0, s9, v3, s0
	v_lshlrev_b64_e32 v[7:8], 2, v[0:1]
	v_lshlrev_b32_e32 v1, 2, v0
	s_mov_b32 s2, exec_lo
	s_delay_alu instid0(VALU_DEP_1) | instskip(NEXT) | instid1(VALU_DEP_3)
	v_add3_u32 v1, 0, v36, v1
	v_add_co_u32 v7, s0, v4, v7
	s_wait_alu 0xf1ff
	v_add_co_ci_u32_e64 v8, s0, v5, v8, s0
	s_clause 0x5
	global_load_b32 v9, v[7:8], off
	global_load_b32 v10, v[7:8], off offset:68
	global_load_b32 v11, v[7:8], off offset:136
	;; [unrolled: 1-line block ×5, first 2 shown]
	s_wait_loadcnt 0x4
	ds_store_2addr_b32 v1, v9, v10 offset1:17
	s_wait_loadcnt 0x2
	ds_store_2addr_b32 v1, v11, v12 offset0:34 offset1:51
	s_wait_loadcnt 0x0
	ds_store_2addr_b32 v1, v13, v7 offset0:68 offset1:85
	v_cmpx_eq_u32_e32 16, v0
	s_cbranch_execz .LBB0_11
; %bb.10:
	global_load_b32 v4, v[4:5], off offset:408
	v_mov_b32_e32 v0, 16
	s_wait_loadcnt 0x0
	ds_store_b32 v1, v4 offset:344
.LBB0_11:
	s_wait_alu 0xfffe
	s_or_b32 exec_lo, exec_lo, s2
.LBB0_12:
	s_wait_alu 0xfffe
	s_or_b32 exec_lo, exec_lo, s1
	v_lshl_add_u32 v20, v6, 2, 0
	v_lshlrev_b32_e32 v6, 2, v0
	global_wb scope:SCOPE_SE
	s_wait_dscnt 0x0
	s_barrier_signal -1
	s_barrier_wait -1
	global_inv scope:SCOPE_SE
	v_add_nc_u32_e32 v21, v20, v6
	v_sub_nc_u32_e32 v7, v20, v6
	s_mov_b32 s1, exec_lo
                                        ; implicit-def: $vgpr4_vgpr5
	ds_load_u16 v10, v21
	ds_load_u16 v11, v7 offset:408
	s_wait_dscnt 0x0
	v_add_f16_e32 v9, v11, v10
	v_sub_f16_e32 v8, v10, v11
	v_cmpx_ne_u32_e32 0, v0
	s_wait_alu 0xfffe
	s_xor_b32 s1, exec_lo, s1
	s_cbranch_execz .LBB0_14
; %bb.13:
	v_mov_b32_e32 v1, 0
	v_add_f16_e32 v9, v11, v10
	v_sub_f16_e32 v10, v10, v11
	s_delay_alu instid0(VALU_DEP_3) | instskip(NEXT) | instid1(VALU_DEP_1)
	v_lshlrev_b64_e32 v[4:5], 2, v[0:1]
	v_add_co_u32 v4, s0, s4, v4
	s_wait_alu 0xf1ff
	s_delay_alu instid0(VALU_DEP_2)
	v_add_co_ci_u32_e64 v5, s0, s5, v5, s0
	global_load_b32 v4, v[4:5], off offset:340
	ds_load_u16 v5, v7 offset:410
	ds_load_u16 v8, v21 offset:2
	s_wait_dscnt 0x0
	v_add_f16_e32 v11, v5, v8
	v_sub_f16_e32 v5, v8, v5
	s_wait_loadcnt 0x0
	v_lshrrev_b32_e32 v12, 16, v4
	s_delay_alu instid0(VALU_DEP_1) | instskip(NEXT) | instid1(VALU_DEP_3)
	v_fma_f16 v13, -v10, v12, v9
	v_fma_f16 v14, v11, v12, -v5
	v_fma_f16 v8, v11, v12, v5
	v_fma_f16 v9, v10, v12, v9
	s_delay_alu instid0(VALU_DEP_4) | instskip(NEXT) | instid1(VALU_DEP_4)
	v_fmac_f16_e32 v13, v4, v11
	v_fmac_f16_e32 v14, v10, v4
	s_delay_alu instid0(VALU_DEP_4) | instskip(NEXT) | instid1(VALU_DEP_4)
	v_fmac_f16_e32 v8, v10, v4
	v_fma_f16 v9, -v4, v11, v9
	v_dual_mov_b32 v5, v1 :: v_dual_mov_b32 v4, v0
	s_delay_alu instid0(VALU_DEP_4)
	v_pack_b32_f16 v10, v13, v14
	ds_store_b32 v7, v10 offset:408
.LBB0_14:
	s_wait_alu 0xfffe
	s_and_not1_saveexec_b32 s0, s1
	s_cbranch_execz .LBB0_16
; %bb.15:
	ds_load_b32 v1, v20 offset:204
	v_mov_b32_e32 v4, 0
	v_mov_b32_e32 v5, 0
	s_wait_dscnt 0x0
	v_pk_mul_f16 v1, 0xc0004000, v1
	ds_store_b32 v20, v1 offset:204
.LBB0_16:
	s_wait_alu 0xfffe
	s_or_b32 exec_lo, exec_lo, s0
	v_lshlrev_b64_e32 v[4:5], 2, v[4:5]
	s_add_nc_u64 s[0:1], s[4:5], 0x154
	s_wait_alu 0xfffe
	s_delay_alu instid0(VALU_DEP_1) | instskip(SKIP_1) | instid1(VALU_DEP_2)
	v_add_co_u32 v4, s0, s0, v4
	s_wait_alu 0xf1ff
	v_add_co_ci_u32_e64 v5, s0, s1, v5, s0
	s_mov_b32 s1, exec_lo
	s_clause 0x1
	global_load_b32 v1, v[4:5], off offset:68
	global_load_b32 v4, v[4:5], off offset:136
	v_perm_b32 v5, v8, v9, 0x5040100
	ds_store_b32 v21, v5
	ds_load_b32 v5, v21 offset:68
	ds_load_b32 v8, v7 offset:340
	s_wait_dscnt 0x1
	v_lshrrev_b32_e32 v9, 16, v5
	s_wait_dscnt 0x0
	v_lshrrev_b32_e32 v10, 16, v8
	v_add_f16_e32 v11, v5, v8
	v_sub_f16_e32 v5, v5, v8
	s_delay_alu instid0(VALU_DEP_3) | instskip(SKIP_3) | instid1(VALU_DEP_1)
	v_add_f16_e32 v8, v10, v9
	v_sub_f16_e32 v9, v9, v10
	s_wait_loadcnt 0x1
	v_lshrrev_b32_e32 v12, 16, v1
	v_fma_f16 v10, v5, v12, v11
	s_delay_alu instid0(VALU_DEP_3) | instskip(SKIP_2) | instid1(VALU_DEP_4)
	v_fma_f16 v13, v8, v12, v9
	v_fma_f16 v11, -v5, v12, v11
	v_fma_f16 v9, v8, v12, -v9
	v_fma_f16 v10, -v1, v8, v10
	s_delay_alu instid0(VALU_DEP_4) | instskip(NEXT) | instid1(VALU_DEP_4)
	v_fmac_f16_e32 v13, v5, v1
	v_fmac_f16_e32 v11, v1, v8
	s_delay_alu instid0(VALU_DEP_4) | instskip(NEXT) | instid1(VALU_DEP_3)
	v_fmac_f16_e32 v9, v5, v1
	v_pack_b32_f16 v1, v10, v13
	s_wait_loadcnt 0x0
	v_lshrrev_b32_e32 v10, 16, v4
	s_delay_alu instid0(VALU_DEP_3)
	v_pack_b32_f16 v5, v11, v9
	ds_store_b32 v21, v1 offset:68
	ds_store_b32 v7, v5 offset:340
	ds_load_b32 v1, v21 offset:136
	ds_load_b32 v5, v7 offset:272
	s_wait_dscnt 0x1
	v_lshrrev_b32_e32 v8, 16, v1
	s_wait_dscnt 0x0
	v_lshrrev_b32_e32 v9, 16, v5
	v_add_f16_e32 v11, v1, v5
	v_sub_f16_e32 v1, v1, v5
	s_delay_alu instid0(VALU_DEP_3) | instskip(SKIP_1) | instid1(VALU_DEP_3)
	v_add_f16_e32 v5, v9, v8
	v_sub_f16_e32 v8, v8, v9
	v_fma_f16 v9, v1, v10, v11
	v_fma_f16 v11, -v1, v10, v11
	s_delay_alu instid0(VALU_DEP_3) | instskip(SKIP_1) | instid1(VALU_DEP_4)
	v_fma_f16 v12, v5, v10, v8
	v_fma_f16 v8, v5, v10, -v8
	v_fma_f16 v9, -v4, v5, v9
	s_delay_alu instid0(VALU_DEP_4) | instskip(NEXT) | instid1(VALU_DEP_4)
	v_fmac_f16_e32 v11, v4, v5
	v_fmac_f16_e32 v12, v1, v4
	s_delay_alu instid0(VALU_DEP_4) | instskip(SKIP_1) | instid1(VALU_DEP_3)
	v_fmac_f16_e32 v8, v1, v4
	v_add3_u32 v1, 0, v6, v36
	v_pack_b32_f16 v4, v9, v12
	s_delay_alu instid0(VALU_DEP_3)
	v_pack_b32_f16 v5, v11, v8
	ds_store_b32 v21, v4 offset:136
	ds_store_b32 v7, v5 offset:272
	global_wb scope:SCOPE_SE
	s_wait_dscnt 0x0
	s_barrier_signal -1
	s_barrier_wait -1
	global_inv scope:SCOPE_SE
	global_wb scope:SCOPE_SE
	s_barrier_signal -1
	s_barrier_wait -1
	global_inv scope:SCOPE_SE
	ds_load_2addr_b32 v[18:19], v1 offset0:6 offset1:12
	ds_load_2addr_b32 v[16:17], v1 offset0:18 offset1:24
	ds_load_b32 v22, v21
	ds_load_2addr_b32 v[14:15], v1 offset0:30 offset1:36
	ds_load_2addr_b32 v[12:13], v1 offset0:42 offset1:48
	;; [unrolled: 1-line block ×6, first 2 shown]
	global_wb scope:SCOPE_SE
	s_wait_dscnt 0x0
	s_barrier_signal -1
	s_barrier_wait -1
	global_inv scope:SCOPE_SE
	v_cmpx_gt_u32_e32 6, v0
	s_cbranch_execz .LBB0_18
; %bb.17:
	v_pk_add_f16 v23, v22, v18
	v_pk_add_f16 v34, v5, v18
	v_pk_add_f16 v27, v18, v5 neg_lo:[0,1] neg_hi:[0,1]
	v_pk_add_f16 v32, v7, v16
	v_pk_add_f16 v25, v16, v7 neg_lo:[0,1] neg_hi:[0,1]
	v_pk_add_f16 v18, v23, v19
	v_mul_u32_u24_e32 v37, 0x44, v0
	v_pk_add_f16 v29, v8, v15
	v_pk_add_f16 v33, v4, v19
	v_pk_add_f16 v26, v19, v4 neg_lo:[0,1] neg_hi:[0,1]
	v_pk_add_f16 v16, v18, v16
	v_pk_add_f16 v18, v15, v8 neg_lo:[0,1] neg_hi:[0,1]
	;; [unrolled: 2-line block ×3, first 2 shown]
	v_pk_add_f16 v30, v9, v14
	v_pk_add_f16 v16, v16, v17
	v_pk_add_f16 v19, v14, v9 neg_lo:[0,1] neg_hi:[0,1]
	v_pk_add_f16 v28, v11, v12
	v_pk_add_f16 v17, v12, v11 neg_lo:[0,1] neg_hi:[0,1]
	v_lshrrev_b32_e32 v71, 16, v33
	v_pk_add_f16 v38, v16, v14
	v_add3_u32 v14, 0, v37, v36
	v_lshrrev_b32_e32 v36, 16, v34
	v_pk_add_f16 v23, v10, v13
	v_pk_add_f16 v16, v13, v10 neg_lo:[0,1] neg_hi:[0,1]
	v_pk_add_f16 v15, v38, v15
	v_lshrrev_b32_e32 v35, 16, v22
	v_mul_f16_e32 v55, 0xbacd, v36
	v_lshrrev_b32_e32 v73, 16, v32
	v_mul_f16_e32 v54, 0x3722, v71
	v_pk_add_f16 v12, v15, v12
	v_lshrrev_b32_e32 v74, 16, v31
	v_lshrrev_b32_e32 v77, 16, v30
	v_mul_f16_e32 v39, 0x2de8, v73
	v_lshrrev_b32_e32 v85, 16, v27
	v_pk_add_f16 v12, v12, v13
	v_mul_f16_e32 v38, 0xb8d2, v74
	v_lshrrev_b32_e32 v79, 16, v29
	v_lshrrev_b32_e32 v88, 16, v26
	v_mul_f16_e32 v37, 0x3b76, v77
	v_pk_add_f16 v10, v12, v10
	v_fmamk_f16 v12, v27, 0x3836, v55
	v_mul_f16_e32 v50, 0xb836, v85
	v_lshrrev_b32_e32 v84, 16, v28
	v_lshrrev_b32_e32 v90, 16, v25
	v_pk_add_f16 v10, v10, v11
	v_fmamk_f16 v11, v26, 0xbb29, v54
	v_add_f16_e32 v12, v35, v12
	v_mul_f16_e32 v15, 0xbbdd, v79
	v_mul_f16_e32 v47, 0x3b29, v88
	v_pk_add_f16 v8, v10, v8
	v_fmamk_f16 v10, v25, 0x3bf7, v39
	v_add_f16_e32 v11, v11, v12
	v_lshrrev_b32_e32 v70, 16, v23
	v_lshrrev_b32_e32 v98, 16, v24
	v_pk_add_f16 v8, v8, v9
	v_fmamk_f16 v9, v24, 0xba62, v38
	v_add_f16_e32 v10, v10, v11
	v_mul_f16_e32 v13, 0x39e9, v84
	v_mul_f16_e32 v43, 0xbbf7, v90
	v_pk_add_f16 v6, v8, v6
	v_fmamk_f16 v8, v19, 0x35c8, v37
	v_add_f16_e32 v9, v9, v10
	v_fmamk_f16 v10, v34, 0xbacd, v50
	v_fmamk_f16 v11, v33, 0x3722, v47
	v_pk_add_f16 v6, v6, v7
	v_fmamk_f16 v7, v18, 0x31e1, v15
	v_add_f16_e32 v8, v8, v9
	v_add_f16_e32 v9, v22, v10
	v_mul_f16_e32 v12, 0xb461, v70
	v_pk_add_f16 v4, v6, v4
	v_fmamk_f16 v6, v17, 0xb964, v13
	v_fmamk_f16 v10, v32, 0x2de8, v43
	v_add_f16_e32 v7, v7, v8
	v_add_f16_e32 v8, v11, v9
	v_mul_f16_e32 v41, 0x3a62, v98
	v_lshrrev_b32_e32 v102, 16, v19
	v_pk_add_f16 v4, v4, v5
	v_add_f16_e32 v5, v6, v7
	v_fmamk_f16 v6, v16, 0x3bb2, v12
	v_add_f16_e32 v7, v10, v8
	v_fmamk_f16 v8, v31, 0xb8d2, v41
	v_mul_f16_e32 v42, 0xb5c8, v102
	v_lshrrev_b32_e32 v104, 16, v18
	v_mul_f16_e32 v59, 0xb8d2, v36
	v_add_f16_e32 v5, v6, v5
	v_add_f16_e32 v6, v8, v7
	v_fmamk_f16 v7, v30, 0x3b76, v42
	v_mul_f16_e32 v51, 0xb1e1, v104
	v_lshrrev_b32_e32 v107, 16, v17
	v_fmamk_f16 v8, v27, 0x3a62, v59
	v_mul_f16_e32 v60, 0xb461, v71
	v_add_f16_e32 v6, v7, v6
	v_fmamk_f16 v7, v29, 0xbbdd, v51
	v_mul_f16_e32 v40, 0x3964, v107
	v_add_f16_e32 v8, v35, v8
	;; [unrolled: 3-line block ×4, first 2 shown]
	v_fmamk_f16 v9, v25, 0x35c8, v45
	v_mul_f16_e32 v63, 0xba62, v85
	v_lshrrev_b32_e32 v108, 16, v16
	v_add_f16_e32 v6, v7, v6
	v_mul_f16_e32 v56, 0x2de8, v77
	v_add_f16_e32 v7, v9, v8
	v_fmamk_f16 v8, v24, 0x3836, v46
	v_fmamk_f16 v10, v34, 0xb8d2, v63
	v_mul_f16_e32 v64, 0x3bb2, v88
	v_mul_f16_e32 v44, 0xbbb2, v108
	;; [unrolled: 1-line block ×3, first 2 shown]
	v_add_f16_e32 v7, v8, v7
	v_fmamk_f16 v8, v19, 0xbbf7, v56
	v_add_f16_e32 v10, v22, v10
	v_fmamk_f16 v11, v33, 0xb461, v64
	v_mul_f16_e32 v66, 0xb5c8, v90
	v_fmamk_f16 v9, v23, 0xb461, v44
	v_add_f16_e32 v7, v8, v7
	v_fmamk_f16 v8, v18, 0x3964, v48
	v_mul_f16_e32 v49, 0xbbdd, v84
	v_add_f16_e32 v10, v11, v10
	v_fmamk_f16 v11, v32, 0x3b76, v66
	v_mul_f16_e32 v57, 0xb836, v98
	v_add_f16_e32 v7, v8, v7
	v_fmamk_f16 v8, v17, 0x31e1, v49
	v_add_f16_e32 v6, v9, v6
	v_add_f16_e32 v9, v11, v10
	v_fmamk_f16 v10, v31, 0xbacd, v57
	v_mul_f16_e32 v58, 0x3bf7, v102
	v_mul_f16_e32 v67, 0xb461, v36
	v_add_f16_e32 v7, v8, v7
	v_mul_f16_e32 v52, 0x3722, v70
	v_add_f16_e32 v8, v10, v9
	v_fmamk_f16 v9, v30, 0x2de8, v58
	v_mul_f16_e32 v65, 0xb964, v104
	v_fmamk_f16 v11, v27, 0x3bb2, v67
	v_mul_f16_e32 v68, 0xbacd, v71
	v_fmamk_f16 v10, v16, 0xbb29, v52
	v_add_f16_e32 v8, v9, v8
	v_fmamk_f16 v9, v29, 0x39e9, v65
	v_mul_f16_e32 v53, 0xb1e1, v107
	v_add_f16_e32 v11, v35, v11
	v_fmamk_f16 v61, v26, 0xb836, v68
	v_mul_f16_e32 v62, 0x39e9, v73
	v_mul_f16_e32 v75, 0xbbb2, v85
	v_add_f16_e32 v8, v9, v8
	v_fmamk_f16 v9, v28, 0xbbdd, v53
	v_add_f16_e32 v7, v10, v7
	v_add_f16_e32 v10, v61, v11
	v_fmamk_f16 v11, v25, 0xb964, v62
	v_mul_f16_e32 v72, 0x3722, v74
	v_fmamk_f16 v61, v34, 0xb461, v75
	v_mul_f16_e32 v82, 0x3836, v88
	v_add_f16_e32 v8, v9, v8
	v_add_f16_e32 v9, v11, v10
	v_mul_f16_e32 v89, 0x3964, v90
	v_add_f16_e32 v10, v22, v61
	v_fmamk_f16 v11, v33, 0xbacd, v82
	v_fmamk_f16 v61, v24, 0x3b29, v72
	v_mul_f16_e32 v92, 0xbbdd, v77
	v_mul_f16_e32 v76, 0xbb29, v98
	;; [unrolled: 1-line block ×3, first 2 shown]
	v_add_f16_e32 v10, v11, v10
	v_fmamk_f16 v11, v32, 0x39e9, v89
	v_add_f16_e32 v9, v61, v9
	v_fmamk_f16 v61, v19, 0x31e1, v92
	v_mul_f16_e32 v81, 0xb1e1, v102
	v_mul_f16_e32 v86, 0x3b76, v84
	v_add_f16_e32 v10, v11, v10
	v_fmamk_f16 v11, v31, 0x3722, v76
	v_add_f16_e32 v9, v61, v9
	v_fmamk_f16 v61, v18, 0xbbf7, v80
	v_mul_f16_e32 v87, 0x3bf7, v104
	v_mul_f16_e32 v91, 0xb8d2, v70
	v_add_f16_e32 v10, v11, v10
	v_fmamk_f16 v11, v30, 0xbbdd, v81
	v_add_f16_e32 v9, v61, v9
	v_fmamk_f16 v61, v17, 0x35c8, v86
	v_mul_f16_e32 v69, 0xb5c8, v107
	v_mul_f16_e32 v109, 0x2de8, v36
	v_add_f16_e32 v10, v11, v10
	v_fmamk_f16 v11, v29, 0x2de8, v87
	v_add_f16_e32 v9, v61, v9
	v_fmamk_f16 v61, v16, 0x3a62, v91
	v_mul_f16_e32 v110, 0xbbdd, v71
	v_mul_f16_e32 v111, 0xbbf7, v85
	v_add_f16_e32 v10, v11, v10
	v_fmamk_f16 v11, v28, 0x3b76, v69
	v_add_f16_e32 v9, v61, v9
	v_fmamk_f16 v61, v27, 0x3bf7, v109
	v_mul_f16_e32 v112, 0xb461, v73
	v_fmamk_f16 v93, v34, 0x2de8, v111
	v_add_f16_e32 v10, v11, v10
	v_mul_f16_e32 v113, 0xb1e1, v88
	v_add_f16_e32 v11, v35, v61
	v_fmamk_f16 v61, v26, 0x31e1, v110
	v_mul_f16_e32 v114, 0x3b76, v74
	v_add_f16_e32 v93, v22, v93
	v_fmamk_f16 v95, v33, 0xbbdd, v113
	;; [unrolled: 3-line block ×3, first 2 shown]
	v_mul_f16_e32 v78, 0x3b29, v108
	v_mul_f16_e32 v116, 0x3722, v77
	v_add_f16_e32 v93, v95, v93
	v_fmamk_f16 v95, v32, 0xb461, v115
	v_add_f16_e32 v11, v61, v11
	v_fmamk_f16 v61, v24, 0xb5c8, v114
	v_mul_f16_e32 v100, 0x35c8, v98
	v_fmamk_f16 v83, v23, 0x3722, v78
	v_mul_f16_e32 v105, 0xbacd, v79
	v_add_f16_e32 v93, v95, v93
	v_add_f16_e32 v11, v61, v11
	v_fmamk_f16 v61, v19, 0x3b29, v116
	v_fmamk_f16 v95, v31, 0x3b76, v100
	v_mul_f16_e32 v101, 0xbb29, v102
	v_add_f16_e32 v8, v83, v8
	v_mul_f16_e32 v83, 0xba62, v108
	v_add_f16_e32 v11, v61, v11
	v_fmamk_f16 v61, v18, 0x3836, v105
	v_mul_f16_e32 v106, 0xb8d2, v84
	v_add_f16_e32 v93, v95, v93
	v_fmamk_f16 v95, v30, 0x3722, v101
	v_mul_f16_e32 v97, 0xb836, v104
	v_fmamk_f16 v94, v23, 0xb8d2, v83
	v_add_f16_e32 v11, v61, v11
	v_fmamk_f16 v61, v17, 0xba62, v106
	v_mul_f16_e32 v103, 0x39e9, v70
	v_add_f16_e32 v95, v95, v93
	v_fmamk_f16 v96, v29, 0xbacd, v97
	v_mul_f16_e32 v93, 0x3a62, v107
	v_mul_f16_e32 v117, 0x3722, v36
	v_add_f16_e32 v61, v61, v11
	v_fmamk_f16 v99, v16, 0xb964, v103
	v_add_f16_e32 v95, v96, v95
	v_fmamk_f16 v96, v28, 0xb8d2, v93
	;; [unrolled: 2-line block ×3, first 2 shown]
	v_mul_f16_e32 v118, 0xb8d2, v71
	v_mul_f16_e32 v119, 0xbb29, v85
	v_add_f16_e32 v10, v99, v61
	v_add_f16_e32 v61, v96, v95
	;; [unrolled: 1-line block ×3, first 2 shown]
	v_fmamk_f16 v95, v26, 0x3a62, v118
	v_mul_f16_e32 v120, 0xbbdd, v73
	v_fmamk_f16 v96, v34, 0x3722, v119
	v_mul_f16_e32 v122, 0xba62, v88
	v_mul_f16_e32 v123, 0xb461, v74
	v_add_f16_e32 v94, v95, v94
	v_fmamk_f16 v95, v25, 0xb1e1, v120
	v_add_f16_e32 v96, v22, v96
	v_fmamk_f16 v99, v33, 0xb8d2, v122
	v_mul_f16_e32 v124, 0x31e1, v90
	v_mul_f16_e32 v125, 0x39e9, v77
	v_add_f16_e32 v94, v95, v94
	v_fmamk_f16 v95, v24, 0xbbb2, v123
	v_add_f16_e32 v96, v99, v96
	;; [unrolled: 6-line block ×3, first 2 shown]
	v_fma_f16 v128, 0xb461, v31, v126
	v_mul_f16_e64 v129, 0x3964, v102
	v_mul_f16_e32 v99, 0x2de8, v84
	v_add_f16_e32 v94, v95, v94
	v_fmamk_f16 v95, v18, 0x35c8, v127
	v_add_f16_e64 v128, v128, v96
	v_fma_f16 v130, 0x39e9, v30, v129
	v_mul_f16_e32 v96, 0xb5c8, v104
	v_mul_f16_e32 v121, 0x3964, v108
	v_add_f16_e64 v131, v95, v94
	v_fma_f16 v132, 0x3bf7, v17, v99
	v_mul_f16_e32 v94, 0xbacd, v70
	v_add_f16_e64 v128, v130, v128
	v_fma_f16 v130, 0x3b76, v29, v96
	v_mul_f16_e32 v95, 0xbbf7, v107
	v_fma_f16 v133, 0x39e9, v23, v121
	v_add_f16_e64 v131, v132, v131
	v_fma_f16 v132, 0x3836, v16, v94
	v_add_f16_e64 v128, v130, v128
	v_fma_f16 v130, 0x2de8, v28, v95
	v_mul_f16_e64 v134, 0x39e9, v36
	v_add_f16_e64 v36, v133, v61
	v_add_f16_e64 v61, v132, v131
	v_mul_f16_e64 v131, 0xb964, v85
	v_add_f16_e64 v128, v130, v128
	v_fma_f16 v85, 0x3964, v27, v134
	v_mul_f16_e64 v130, 0x2de8, v71
	v_mul_f16_e64 v133, 0xbbf7, v88
	v_fma_f16 v71, 0x39e9, v34, v131
	v_mul_f16_e64 v135, 0xb8d2, v73
	v_add_f16_e32 v85, v35, v85
	v_fma_f16 v88, 0x3bf7, v26, v130
	v_fma_f16 v73, 0x2de8, v33, v133
	v_add_f16_e32 v71, v22, v71
	v_mul_f16_e64 v136, 0xba62, v90
	v_mul_f16_e64 v137, 0xbbdd, v74
	v_add_f16_e32 v85, v88, v85
	v_fma_f16 v88, 0x3a62, v25, v135
	v_add_f16_e32 v71, v73, v71
	v_fma_f16 v73, 0xb8d2, v32, v136
	v_mul_f16_e64 v138, 0xb1e1, v98
	v_mul_f16_e64 v139, 0xbacd, v77
	v_add_f16_e32 v74, v88, v85
	v_fma_f16 v85, 0x31e1, v24, v137
	v_add_f16_e32 v71, v73, v71
	v_fma_f16 v73, 0xbbdd, v31, v138
	v_mul_f16_e64 v140, 0x3836, v102
	v_fma_f16 v77, 0xb836, v19, v139
	v_add_f16_e32 v74, v85, v74
	v_mul_f16_e64 v141, 0xb461, v79
	v_add_f16_e32 v71, v73, v71
	v_fma_f16 v73, 0xbacd, v30, v140
	v_mul_f16_e64 v142, 0x3bb2, v104
	v_add_f16_e32 v74, v77, v74
	v_fma_f16 v77, 0xbbb2, v18, v141
	;; [unrolled: 3-line block ×3, first 2 shown]
	v_pk_mul_f16 v85, 0xb964, v26 op_sel_hi:[0,1]
	v_add_f16_e32 v77, v77, v74
	v_pk_mul_f16 v74, 0xb5c8, v27 op_sel_hi:[0,1]
	v_mul_f16_e32 v107, 0x3b29, v107
	v_add_f16_e32 v84, v73, v71
	v_fma_f16 v79, 0xbb29, v17, v143
	v_mul_f16_e64 v144, 0x3b76, v70
	v_pk_fma_f16 v71, 0x3b76, v34, v74 op_sel:[0,0,1] op_sel_hi:[0,1,0]
	v_pk_fma_f16 v73, 0x3b76, v34, v74 op_sel:[0,0,1] op_sel_hi:[0,1,0] neg_lo:[0,0,1] neg_hi:[0,0,1]
	v_pk_fma_f16 v70, 0x39e9, v33, v85 op_sel:[0,0,1] op_sel_hi:[0,1,0]
	v_pk_fma_f16 v74, 0x39e9, v33, v85 op_sel:[0,0,1] op_sel_hi:[0,1,0] neg_lo:[0,0,1] neg_hi:[0,0,1]
	v_pk_mul_f16 v85, 0xbb29, v25 op_sel_hi:[0,1]
	v_mul_f16_e64 v132, 0xb836, v108
	v_bfi_b32 v98, 0xffff, v71, v73
	v_fmamk_f16 v88, v28, 0x3722, v107
	v_add_f16_e32 v102, v79, v77
	v_bfi_b32 v145, 0xffff, v70, v74
	v_pk_fma_f16 v77, 0x3722, v32, v85 op_sel:[0,0,1] op_sel_hi:[0,1,0]
	v_pk_add_f16 v98, v22, v98
	v_pk_fma_f16 v79, 0x3722, v32, v85 op_sel:[0,0,1] op_sel_hi:[0,1,0] neg_lo:[0,0,1] neg_hi:[0,0,1]
	v_pk_mul_f16 v85, 0xbbf7, v24 op_sel_hi:[0,1]
	v_mul_f16_e32 v108, 0x35c8, v108
	v_fma_f16 v90, 0xbacd, v23, v132
	v_fma_f16 v104, 0xb5c8, v16, v144
	v_add_f16_e64 v146, v88, v84
	v_pk_add_f16 v88, v145, v98
	v_bfi_b32 v98, 0xffff, v77, v79
	v_pk_fma_f16 v84, 0x2de8, v31, v85 op_sel:[0,0,1] op_sel_hi:[0,1,0]
	v_pk_fma_f16 v85, 0x2de8, v31, v85 op_sel:[0,0,1] op_sel_hi:[0,1,0] neg_lo:[0,0,1] neg_hi:[0,0,1]
	v_pk_mul_f16 v145, 0xbbb2, v19 op_sel_hi:[0,1]
	v_fma_f16 v147, 0x3b76, v23, v108
	v_add_f16_e64 v128, v90, v128
	v_add_f16_e64 v148, v104, v102
	v_pk_add_f16 v98, v98, v88
	v_bfi_b32 v102, 0xffff, v84, v85
	v_pk_fma_f16 v88, 0xb461, v30, v145 op_sel:[0,0,1] op_sel_hi:[0,1,0]
	v_pk_fma_f16 v90, 0xb461, v30, v145 op_sel:[0,0,1] op_sel_hi:[0,1,0] neg_lo:[0,0,1] neg_hi:[0,0,1]
	v_pk_mul_f16 v104, 0xba62, v18 op_sel_hi:[0,1]
	v_fmac_f16_e32 v55, 0xb836, v27
	v_add_f16_e64 v145, v147, v146
	v_pk_add_f16 v146, v102, v98
	v_bfi_b32 v147, 0xffff, v88, v90
	v_pk_fma_f16 v98, 0xb8d2, v29, v104 op_sel:[0,0,1] op_sel_hi:[0,1,0]
	v_pk_fma_f16 v102, 0xb8d2, v29, v104 op_sel:[0,0,1] op_sel_hi:[0,1,0] neg_lo:[0,0,1] neg_hi:[0,0,1]
	v_add_f16_e64 v149, v35, v55
	v_fmac_f16_e32 v54, 0x3b29, v26
	v_pk_mul_f16 v104, 0xb836, v17 op_sel_hi:[0,1]
	v_pk_add_f16 v146, v147, v146
	v_bfi_b32 v147, 0xffff, v98, v102
	v_fmac_f16_e32 v39, 0xbbf7, v25
	v_add_f16_e64 v54, v54, v149
	v_pk_fma_f16 v55, 0xbacd, v28, v104 op_sel:[0,0,1] op_sel_hi:[0,1,0]
	v_pk_fma_f16 v104, 0xbacd, v28, v104 op_sel:[0,0,1] op_sel_hi:[0,1,0] neg_lo:[0,0,1] neg_hi:[0,0,1]
	v_pk_add_f16 v146, v147, v146
	v_pk_mul_f16 v147, 0xb1e1, v16 op_sel_hi:[0,1]
	v_fma_f16 v50, v34, 0xbacd, -v50
	v_add_f16_e32 v39, v39, v54
	v_fmac_f16_e32 v38, 0x3a62, v24
	v_bfi_b32 v149, 0xffff, v55, v104
	v_pk_fma_f16 v54, 0xbbdd, v23, v147 op_sel:[0,0,1] op_sel_hi:[0,1,0]
	v_pk_fma_f16 v147, 0xbbdd, v23, v147 op_sel:[0,0,1] op_sel_hi:[0,1,0] neg_lo:[0,0,1] neg_hi:[0,0,1]
	v_add_f16_e32 v50, v22, v50
	v_fma_f16 v47, v33, 0x3722, -v47
	v_add_f16_e32 v38, v38, v39
	v_fmac_f16_e32 v37, 0xb5c8, v19
	v_pk_add_f16 v39, v149, v146
	v_bfi_b32 v146, 0xffff, v54, v147
	v_add_f16_e32 v47, v47, v50
	v_fma_f16 v43, v32, 0x2de8, -v43
	v_add_f16_e32 v37, v37, v38
	v_fmac_f16_e32 v15, 0xb1e1, v18
	v_pk_add_f16 v38, v146, v39
	v_fmac_f16_e32 v59, 0xba62, v27
	v_add_f16_e32 v39, v43, v47
	v_fma_f16 v41, v31, 0xb8d2, -v41
	v_add_f16_e32 v15, v15, v37
	v_fmac_f16_e32 v13, 0x3964, v17
	v_add_f16_e32 v37, v35, v59
	v_fmac_f16_e32 v60, 0x3bb2, v26
	v_add_f16_e32 v39, v41, v39
	v_fma_f16 v41, v30, 0x3b76, -v42
	v_add_f16_e32 v13, v13, v15
	v_fmac_f16_e32 v12, 0xbbb2, v16
	v_add_f16_e32 v15, v60, v37
	v_fma_f16 v42, v33, 0xbacd, -v82
	v_add_f16_e32 v37, v41, v39
	v_fma_f16 v39, v29, 0xbbdd, -v51
	;; [unrolled: 2-line block ×3, first 2 shown]
	v_fma_f16 v41, v34, 0xb461, -v75
	v_fma_f16 v43, v34, 0x2de8, -v111
	v_add_f16_e32 v37, v39, v37
	v_fma_f16 v39, v28, 0x39e9, -v40
	v_add_f16_e32 v13, v22, v13
	;; [unrolled: 2-line block ×3, first 2 shown]
	v_add_f16_e32 v43, v22, v43
	v_add_f16_e32 v37, v39, v37
	v_fma_f16 v39, v23, 0xb461, -v44
	v_add_f16_e32 v13, v40, v13
	v_fma_f16 v40, v32, 0x3b76, -v66
	;; [unrolled: 2-line block ×5, first 2 shown]
	v_fmac_f16_e32 v45, 0xb5c8, v25
	v_fmac_f16_e32 v46, 0xb836, v24
	v_fma_f16 v47, v29, 0x3b76, -v96
	v_add_f16_e32 v13, v39, v13
	v_fma_f16 v39, v30, 0x2de8, -v58
	v_add_f16_e32 v43, v44, v43
	;; [unrolled: 2-line block ×4, first 2 shown]
	v_fma_f16 v39, v29, 0x39e9, -v65
	v_fmac_f16_e32 v56, 0x3bf7, v19
	v_add_f16_e32 v15, v46, v15
	v_add_f16_e32 v45, v22, v45
	v_fma_f16 v46, v33, 0xb8d2, -v122
	v_add_f16_e32 v13, v39, v13
	v_fma_f16 v39, v28, 0xbbdd, -v53
	v_add_f16_e32 v15, v56, v15
	v_fmac_f16_e32 v48, 0xb964, v18
	v_add_f16_e32 v45, v46, v45
	v_fma_f16 v46, v32, 0xbbdd, -v124
	v_add_f16_e32 v13, v39, v13
	v_fma_f16 v39, v23, 0x3722, -v78
	v_add_f16_e32 v15, v48, v15
	v_fmac_f16_e32 v49, 0xb1e1, v17
	v_fmac_f16_e32 v52, 0x3b29, v16
	v_fmac_f16_e32 v67, 0xbbb2, v27
	v_add_f16_e32 v13, v39, v13
	v_add_f16_e32 v39, v42, v41
	v_fma_f16 v41, v31, 0x3722, -v76
	v_add_f16_e32 v15, v49, v15
	v_fmac_f16_e32 v109, 0xbbf7, v27
	v_fmac_f16_e32 v117, 0xbb29, v27
	v_fmac_f16_e64 v134, 0xb964, v27
	v_add_f16_e32 v39, v41, v39
	v_fma_f16 v41, v30, 0xbbdd, -v81
	v_add_f16_e32 v15, v52, v15
	v_fmac_f16_e32 v68, 0x3836, v26
	v_fmac_f16_e32 v110, 0xb1e1, v26
	;; [unrolled: 1-line block ×3, first 2 shown]
	v_add_f16_e32 v39, v41, v39
	v_fma_f16 v41, v29, 0x2de8, -v87
	v_fmac_f16_e64 v130, 0xbbf7, v26
	v_pack_b32_f16 v9, v11, v9
	v_fmac_f16_e32 v62, 0x3964, v25
	v_fmac_f16_e32 v112, 0x3bb2, v25
	v_add_f16_e32 v39, v41, v39
	v_fma_f16 v41, v28, 0x3b76, -v69
	v_fmac_f16_e32 v120, 0x31e1, v25
	v_fmac_f16_e64 v135, 0xba62, v25
	v_add_f16_e32 v40, v35, v67
	v_add_f16_e32 v42, v35, v109
	;; [unrolled: 1-line block ×3, first 2 shown]
	v_fma_f16 v41, v23, 0xb8d2, -v83
	v_fmac_f16_e32 v72, 0xbb29, v24
	v_fmac_f16_e32 v114, 0x35c8, v24
	;; [unrolled: 1-line block ×3, first 2 shown]
	v_fmac_f16_e64 v137, 0xb1e1, v24
	v_add_f16_e32 v39, v41, v39
	v_add_f16_e32 v41, v44, v43
	v_fma_f16 v43, v31, 0x3b76, -v100
	v_add_f16_e32 v44, v35, v117
	v_add_f16_e64 v35, v35, v134
	v_pack_b32_f16 v5, v6, v5
	v_bfi_b32 v6, 0xffff, v73, v71
	v_add_f16_e32 v41, v43, v41
	v_fma_f16 v43, v30, 0x3722, -v101
	v_add_f16_e32 v40, v68, v40
	v_add_f16_e32 v42, v110, v42
	;; [unrolled: 1-line block ×3, first 2 shown]
	v_add_f16_e64 v35, v130, v35
	v_add_f16_e32 v41, v43, v41
	v_fma_f16 v43, v29, 0xbacd, -v97
	v_fmac_f16_e32 v92, 0xb1e1, v19
	v_fmac_f16_e32 v116, 0xbb29, v19
	;; [unrolled: 1-line block ×3, first 2 shown]
	v_fmac_f16_e64 v139, 0x3836, v19
	v_add_f16_e32 v41, v43, v41
	v_fma_f16 v43, v28, 0xb8d2, -v93
	v_pk_add_f16 v6, v22, v6
	v_add_f16_e32 v40, v62, v40
	v_add_f16_e32 v42, v112, v42
	;; [unrolled: 1-line block ×4, first 2 shown]
	v_fma_f16 v43, v23, 0x39e9, -v121
	v_add_f16_e64 v35, v135, v35
	v_fmac_f16_e32 v80, 0x3bf7, v18
	v_fmac_f16_e32 v105, 0xb836, v18
	;; [unrolled: 1-line block ×3, first 2 shown]
	v_add_f16_e32 v41, v43, v41
	v_add_f16_e32 v43, v46, v45
	v_fma_f16 v45, v31, 0xb461, -v126
	v_fma_f16 v46, v34, 0x39e9, -v131
	v_pk_mul_f16 v34, 0xbbdd, v34 op_sel_hi:[0,1]
	v_fmac_f16_e64 v141, 0x3bb2, v18
	v_add_f16_e32 v40, v72, v40
	v_add_f16_e32 v43, v45, v43
	v_fma_f16 v45, v30, 0x39e9, -v129
	v_add_f16_e32 v42, v114, v42
	v_add_f16_e32 v44, v123, v44
	v_add_f16_e64 v35, v137, v35
	v_fmac_f16_e32 v86, 0xb5c8, v17
	v_add_f16_e32 v43, v45, v43
	v_add_f16_e32 v45, v22, v46
	v_fma_f16 v46, v33, 0x2de8, -v133
	v_pk_mul_f16 v33, 0x3b76, v33 op_sel_hi:[0,1]
	v_fmac_f16_e32 v106, 0x3a62, v17
	v_add_f16_e32 v43, v47, v43
	v_fma_f16 v47, v28, 0x2de8, -v95
	v_add_f16_e32 v45, v46, v45
	v_fma_f16 v46, v32, 0xb8d2, -v136
	v_pk_fma_f16 v49, 0x35c8, v26, v33 op_sel:[0,0,1] op_sel_hi:[0,1,0]
	v_pk_mul_f16 v32, 0xbacd, v32 op_sel_hi:[0,1]
	v_add_f16_e32 v43, v47, v43
	v_fma_f16 v47, v23, 0xbacd, -v132
	v_add_f16_e32 v45, v46, v45
	v_fma_f16 v46, v31, 0xbbdd, -v138
	v_pk_fma_f16 v50, 0xb836, v25, v32 op_sel:[0,0,1] op_sel_hi:[0,1,0]
	v_pk_mul_f16 v31, 0x39e9, v31 op_sel_hi:[0,1]
	v_add_f16_e32 v43, v47, v43
	v_pk_fma_f16 v47, 0xb1e1, v27, v34 op_sel:[0,0,1] op_sel_hi:[0,1,0]
	v_add_f16_e32 v45, v46, v45
	v_fma_f16 v46, v30, 0xbacd, -v140
	v_pk_fma_f16 v52, 0x3964, v24, v31 op_sel:[0,0,1] op_sel_hi:[0,1,0]
	v_pk_fma_f16 v27, 0xb1e1, v27, v34 op_sel:[0,0,1] op_sel_hi:[0,1,0] neg_lo:[0,1,0] neg_hi:[0,1,0]
	s_wait_alu 0xf1ff
	v_alignbit_b32 v48, s0, v47, 16
	v_pk_mul_f16 v30, 0xb8d2, v30 op_sel_hi:[0,1]
	v_add_f16_e32 v45, v46, v45
	v_fma_f16 v46, v29, 0xb461, -v142
	v_pk_add_f16 v27, v22, v27 op_sel:[1,0] op_sel_hi:[0,1]
	v_pk_fma_f16 v26, 0x35c8, v26, v33 op_sel:[0,0,1] op_sel_hi:[0,1,0] neg_lo:[0,1,0] neg_hi:[0,1,0]
	v_pk_fma_f16 v11, 0xba62, v19, v30 op_sel:[0,0,1] op_sel_hi:[0,1,0]
	v_pk_mul_f16 v29, 0x3722, v29 op_sel_hi:[0,1]
	v_add_f16_e32 v45, v46, v45
	v_fma_f16 v46, v28, 0x3722, -v107
	v_pk_add_f16 v26, v26, v27
	v_pk_fma_f16 v25, 0xb836, v25, v32 op_sel:[0,0,1] op_sel_hi:[0,1,0] neg_lo:[0,1,0] neg_hi:[0,1,0]
	v_alignbit_b32 v34, s0, v11, 16
	v_pk_fma_f16 v56, 0x3b29, v18, v29 op_sel:[0,0,1] op_sel_hi:[0,1,0]
	v_add_f16_e32 v45, v46, v45
	v_pk_add_f16 v46, v22, v48
	v_alignbit_b32 v48, s0, v49, 16
	v_pk_mul_f16 v28, 0xb461, v28 op_sel_hi:[0,1]
	v_pk_add_f16 v25, v25, v26
	v_pk_fma_f16 v24, 0x3964, v24, v31 op_sel:[0,0,1] op_sel_hi:[0,1,0] neg_lo:[0,1,0] neg_hi:[0,1,0]
	v_pk_fma_f16 v19, 0xba62, v19, v30 op_sel:[0,0,1] op_sel_hi:[0,1,0] neg_lo:[0,1,0] neg_hi:[0,1,0]
	v_pk_add_f16 v46, v48, v46
	v_alignbit_b32 v48, s0, v50, 16
	v_pk_fma_f16 v18, 0x3b29, v18, v29 op_sel:[0,0,1] op_sel_hi:[0,1,0] neg_lo:[0,1,0] neg_hi:[0,1,0]
	v_pk_add_f16 v24, v24, v25
	v_fmac_f16_e32 v99, 0xbbf7, v17
	v_fmac_f16_e64 v143, 0x3b29, v17
	v_pk_add_f16 v46, v48, v46
	v_alignbit_b32 v48, s0, v52, 16
	v_pk_add_f16 v19, v19, v24
	v_fma_f16 v51, v23, 0x3b76, -v108
	v_pk_mul_f16 v23, 0x2de8, v23 op_sel_hi:[0,1]
	v_add_f16_e32 v40, v92, v40
	v_pk_add_f16 v46, v48, v46
	v_alignbit_b32 v48, s0, v22, 16
	v_bfi_b32 v22, 0xffff, v74, v70
	v_pk_add_f16 v18, v18, v19
	v_bfi_b32 v19, 0xffff, v85, v84
	v_pk_add_f16 v33, v34, v46
	v_pk_add_f16 v47, v48, v47
	v_alignbit_b32 v34, s0, v56, 16
	v_pk_fma_f16 v46, 0xbbb2, v17, v28 op_sel:[0,0,1] op_sel_hi:[0,1,0]
	v_pk_add_f16 v6, v22, v6
	v_bfi_b32 v22, 0xffff, v79, v77
	v_pk_add_f16 v47, v49, v47
	v_pk_add_f16 v27, v34, v33
	v_alignbit_b32 v32, s0, v46, 16
	v_pk_fma_f16 v17, 0xbbb2, v17, v28 op_sel:[0,0,1] op_sel_hi:[0,1,0] neg_lo:[0,1,0] neg_hi:[0,1,0]
	v_pk_add_f16 v6, v22, v6
	v_pk_add_f16 v33, v50, v47
	v_add_f16_e32 v42, v116, v42
	v_pk_add_f16 v26, v32, v27
	v_add_f16_e32 v44, v125, v44
	v_add_f16_e64 v35, v139, v35
	v_pk_add_f16 v27, v52, v33
	v_fmac_f16_e32 v91, 0xba62, v16
	v_fmac_f16_e32 v103, 0x3964, v16
	;; [unrolled: 1-line block ×3, first 2 shown]
	v_fmac_f16_e64 v144, 0x35c8, v16
	v_pk_add_f16 v11, v11, v27
	v_pk_fma_f16 v24, 0x3bf7, v16, v23 op_sel:[0,0,1] op_sel_hi:[0,1,0]
	v_pk_add_f16 v17, v17, v18
	v_pk_fma_f16 v16, 0x3bf7, v16, v23 op_sel:[0,0,1] op_sel_hi:[0,1,0] neg_lo:[0,1,0] neg_hi:[0,1,0]
	v_pk_add_f16 v6, v19, v6
	v_bfi_b32 v18, 0xffff, v90, v88
	v_pk_add_f16 v11, v56, v11
	v_add_f16_e32 v40, v80, v40
	v_add_f16_e32 v42, v105, v42
	;; [unrolled: 1-line block ×3, first 2 shown]
	v_add_f16_e64 v35, v141, v35
	v_pk_add_f16 v16, v16, v17
	v_pk_add_f16 v6, v18, v6
	v_bfi_b32 v17, 0xffff, v102, v98
	v_add_f16_e32 v45, v51, v45
	v_pack_b32_f16 v51, v128, v61
	v_pack_b32_f16 v53, v145, v148
	v_alignbit_b32 v22, s0, v24, 16
	v_pk_add_f16 v11, v46, v11
	v_pack_b32_f16 v10, v36, v10
	v_add_f16_e32 v40, v86, v40
	v_add_f16_e32 v42, v106, v42
	v_pack_b32_f16 v7, v8, v7
	v_add_f16_e32 v44, v99, v44
	v_add_f16_e64 v35, v143, v35
	ds_store_2addr_b32 v14, v4, v38 offset1:1
	ds_store_2addr_b32 v14, v53, v51 offset0:2 offset1:3
	ds_store_2addr_b32 v14, v10, v9 offset0:4 offset1:5
	ds_store_2addr_b32 v14, v7, v5 offset0:6 offset1:7
	v_pk_add_f16 v4, v17, v6
	v_bfi_b32 v5, 0xffff, v104, v55
	v_pk_add_f16 v8, v22, v26
	v_pk_add_f16 v11, v24, v11
	v_add_f16_e32 v40, v91, v40
	v_add_f16_e32 v42, v103, v42
	v_add_f16_e32 v44, v94, v44
	v_add_f16_e64 v35, v144, v35
	v_pk_add_f16 v4, v5, v4
	v_bfi_b32 v5, 0xffff, v147, v54
	v_alignbit_b32 v6, v11, v16, 16
	v_pack_b32_f16 v7, v8, v16
	v_pack_b32_f16 v8, v13, v15
	;; [unrolled: 1-line block ×7, first 2 shown]
	v_pk_add_f16 v4, v5, v4
	ds_store_2addr_b32 v14, v7, v6 offset0:8 offset1:9
	ds_store_2addr_b32 v14, v9, v8 offset0:10 offset1:11
	;; [unrolled: 1-line block ×4, first 2 shown]
	ds_store_b32 v14, v4 offset:64
.LBB0_18:
	s_wait_alu 0xfffe
	s_or_b32 exec_lo, exec_lo, s1
	v_mul_u32_u24_e32 v4, 5, v0
	global_wb scope:SCOPE_SE
	s_wait_dscnt 0x0
	s_barrier_signal -1
	s_barrier_wait -1
	global_inv scope:SCOPE_SE
	v_lshlrev_b32_e32 v8, 2, v4
	s_clause 0x1
	global_load_b128 v[4:7], v8, s[4:5]
	global_load_b32 v12, v8, s[4:5] offset:16
	ds_load_b32 v13, v21
	ds_load_2addr_b32 v[8:9], v1 offset0:17 offset1:34
	ds_load_2addr_b32 v[10:11], v1 offset0:51 offset1:68
	ds_load_b32 v14, v1 offset:340
	global_wb scope:SCOPE_SE
	s_wait_loadcnt_dscnt 0x0
	s_barrier_signal -1
	s_barrier_wait -1
	global_inv scope:SCOPE_SE
	v_lshrrev_b32_e32 v15, 16, v13
	v_lshrrev_b32_e32 v16, 16, v8
	;; [unrolled: 1-line block ×11, first 2 shown]
	v_mul_f16_e32 v27, v22, v16
	v_mul_f16_e32 v22, v22, v8
	;; [unrolled: 1-line block ×10, first 2 shown]
	v_fmac_f16_e32 v27, v4, v8
	v_fma_f16 v4, v4, v16, -v22
	v_fmac_f16_e32 v29, v6, v10
	v_fma_f16 v6, v6, v18, -v24
	v_fma_f16 v8, v12, v21, -v26
	v_fmac_f16_e32 v28, v5, v9
	v_fma_f16 v5, v5, v17, -v23
	v_fmac_f16_e32 v30, v7, v11
	v_fma_f16 v7, v7, v19, -v25
	v_fmac_f16_e32 v31, v12, v14
	v_sub_f16_e32 v18, v6, v8
	v_add_f16_e32 v19, v4, v6
	v_add_f16_e32 v6, v6, v8
	;; [unrolled: 1-line block ×4, first 2 shown]
	v_sub_f16_e32 v11, v5, v7
	v_add_f16_e32 v12, v15, v5
	v_add_f16_e32 v5, v5, v7
	;; [unrolled: 1-line block ×4, first 2 shown]
	v_sub_f16_e32 v21, v29, v31
	v_fmac_f16_e32 v4, -0.5, v6
	v_sub_f16_e32 v14, v28, v30
	v_add_f16_e32 v9, v9, v30
	v_fmac_f16_e32 v13, -0.5, v10
	v_add_f16_e32 v7, v12, v7
	v_fmac_f16_e32 v15, -0.5, v5
	;; [unrolled: 2-line block ×3, first 2 shown]
	v_fmamk_f16 v12, v21, 0x3aee, v4
	v_fmac_f16_e32 v4, 0xbaee, v21
	v_add_f16_e32 v8, v19, v8
	v_fmamk_f16 v6, v11, 0xbaee, v13
	v_fmac_f16_e32 v13, 0x3aee, v11
	v_fmamk_f16 v10, v14, 0x3aee, v15
	v_fmac_f16_e32 v15, 0xbaee, v14
	v_fmamk_f16 v11, v18, 0xbaee, v27
	v_add_f16_e32 v14, v9, v5
	v_sub_f16_e32 v5, v9, v5
	v_mul_f16_e32 v9, 0xbaee, v12
	v_mul_f16_e32 v12, 0.5, v12
	v_fmac_f16_e32 v27, 0x3aee, v18
	v_mul_f16_e32 v17, 0xbaee, v4
	v_mul_f16_e32 v4, -0.5, v4
	v_add_f16_e32 v16, v7, v8
	v_fmac_f16_e32 v9, 0.5, v11
	v_fmac_f16_e32 v12, 0x3aee, v11
	v_fmac_f16_e32 v17, -0.5, v27
	v_fmac_f16_e32 v4, 0x3aee, v27
	v_sub_f16_e32 v7, v7, v8
	v_pack_b32_f16 v8, v14, v16
	v_add_f16_e32 v11, v6, v9
	v_add_f16_e32 v16, v10, v12
	;; [unrolled: 1-line block ×4, first 2 shown]
	v_sub_f16_e32 v6, v6, v9
	v_sub_f16_e32 v9, v13, v17
	;; [unrolled: 1-line block ×4, first 2 shown]
	v_pack_b32_f16 v5, v5, v7
	v_pack_b32_f16 v7, v11, v16
	;; [unrolled: 1-line block ×5, first 2 shown]
	ds_store_2addr_b32 v1, v8, v7 offset1:17
	ds_store_2addr_b32 v1, v11, v5 offset0:34 offset1:51
	ds_store_2addr_b32 v1, v6, v4 offset0:68 offset1:85
	global_wb scope:SCOPE_SE
	s_wait_dscnt 0x0
	s_barrier_signal -1
	s_barrier_wait -1
	global_inv scope:SCOPE_SE
	s_and_saveexec_b32 s0, vcc_lo
	s_cbranch_execz .LBB0_20
; %bb.19:
	v_mov_b32_e32 v1, 0
	v_add_co_u32 v18, vcc_lo, s8, v2
	v_add_nc_u32_e32 v2, 17, v0
	v_lshl_add_u32 v16, v0, 2, v20
	s_wait_alu 0xfffd
	v_add_co_ci_u32_e32 v19, vcc_lo, s9, v3, vcc_lo
	v_dual_mov_b32 v3, v1 :: v_dual_add_nc_u32 v8, 34, v0
	v_lshlrev_b64_e32 v[4:5], 2, v[0:1]
	v_dual_mov_b32 v9, v1 :: v_dual_add_nc_u32 v10, 51, v0
	ds_load_2addr_b32 v[6:7], v16 offset1:17
	v_lshlrev_b64_e32 v[2:3], 2, v[2:3]
	v_dual_mov_b32 v11, v1 :: v_dual_add_nc_u32 v14, 0x44, v0
	ds_load_2addr_b32 v[12:13], v16 offset0:34 offset1:51
	v_add_co_u32 v4, vcc_lo, v18, v4
	v_lshlrev_b64_e32 v[8:9], 2, v[8:9]
	v_dual_mov_b32 v15, v1 :: v_dual_add_nc_u32 v0, 0x55, v0
	ds_load_2addr_b32 v[16:17], v16 offset0:68 offset1:85
	s_wait_alu 0xfffd
	v_add_co_ci_u32_e32 v5, vcc_lo, v19, v5, vcc_lo
	v_add_co_u32 v2, vcc_lo, v18, v2
	v_lshlrev_b64_e32 v[10:11], 2, v[10:11]
	s_wait_alu 0xfffd
	v_add_co_ci_u32_e32 v3, vcc_lo, v19, v3, vcc_lo
	v_add_co_u32 v8, vcc_lo, v18, v8
	v_lshlrev_b64_e32 v[14:15], 2, v[14:15]
	;; [unrolled: 4-line block ×3, first 2 shown]
	s_wait_alu 0xfffd
	v_add_co_ci_u32_e32 v11, vcc_lo, v19, v11, vcc_lo
	v_add_co_u32 v14, vcc_lo, v18, v14
	s_wait_alu 0xfffd
	v_add_co_ci_u32_e32 v15, vcc_lo, v19, v15, vcc_lo
	v_add_co_u32 v0, vcc_lo, v18, v0
	s_wait_alu 0xfffd
	v_add_co_ci_u32_e32 v1, vcc_lo, v19, v1, vcc_lo
	s_wait_dscnt 0x2
	s_clause 0x1
	global_store_b32 v[4:5], v6, off
	global_store_b32 v[2:3], v7, off
	s_wait_dscnt 0x1
	s_clause 0x1
	global_store_b32 v[8:9], v12, off
	global_store_b32 v[10:11], v13, off
	s_wait_dscnt 0x0
	s_clause 0x1
	global_store_b32 v[14:15], v16, off
	global_store_b32 v[0:1], v17, off
.LBB0_20:
	s_nop 0
	s_sendmsg sendmsg(MSG_DEALLOC_VGPRS)
	s_endpgm
	.section	.rodata,"a",@progbits
	.p2align	6, 0x0
	.amdhsa_kernel fft_rtc_back_len102_factors_17_6_wgs_119_tpt_17_halfLds_half_ip_CI_unitstride_sbrr_C2R_dirReg
		.amdhsa_group_segment_fixed_size 0
		.amdhsa_private_segment_fixed_size 0
		.amdhsa_kernarg_size 88
		.amdhsa_user_sgpr_count 2
		.amdhsa_user_sgpr_dispatch_ptr 0
		.amdhsa_user_sgpr_queue_ptr 0
		.amdhsa_user_sgpr_kernarg_segment_ptr 1
		.amdhsa_user_sgpr_dispatch_id 0
		.amdhsa_user_sgpr_private_segment_size 0
		.amdhsa_wavefront_size32 1
		.amdhsa_uses_dynamic_stack 0
		.amdhsa_enable_private_segment 0
		.amdhsa_system_sgpr_workgroup_id_x 1
		.amdhsa_system_sgpr_workgroup_id_y 0
		.amdhsa_system_sgpr_workgroup_id_z 0
		.amdhsa_system_sgpr_workgroup_info 0
		.amdhsa_system_vgpr_workitem_id 0
		.amdhsa_next_free_vgpr 150
		.amdhsa_next_free_sgpr 32
		.amdhsa_reserve_vcc 1
		.amdhsa_float_round_mode_32 0
		.amdhsa_float_round_mode_16_64 0
		.amdhsa_float_denorm_mode_32 3
		.amdhsa_float_denorm_mode_16_64 3
		.amdhsa_fp16_overflow 0
		.amdhsa_workgroup_processor_mode 1
		.amdhsa_memory_ordered 1
		.amdhsa_forward_progress 0
		.amdhsa_round_robin_scheduling 0
		.amdhsa_exception_fp_ieee_invalid_op 0
		.amdhsa_exception_fp_denorm_src 0
		.amdhsa_exception_fp_ieee_div_zero 0
		.amdhsa_exception_fp_ieee_overflow 0
		.amdhsa_exception_fp_ieee_underflow 0
		.amdhsa_exception_fp_ieee_inexact 0
		.amdhsa_exception_int_div_zero 0
	.end_amdhsa_kernel
	.text
.Lfunc_end0:
	.size	fft_rtc_back_len102_factors_17_6_wgs_119_tpt_17_halfLds_half_ip_CI_unitstride_sbrr_C2R_dirReg, .Lfunc_end0-fft_rtc_back_len102_factors_17_6_wgs_119_tpt_17_halfLds_half_ip_CI_unitstride_sbrr_C2R_dirReg
                                        ; -- End function
	.section	.AMDGPU.csdata,"",@progbits
; Kernel info:
; codeLenInByte = 8736
; NumSgprs: 34
; NumVgprs: 150
; ScratchSize: 0
; MemoryBound: 0
; FloatMode: 240
; IeeeMode: 1
; LDSByteSize: 0 bytes/workgroup (compile time only)
; SGPRBlocks: 4
; VGPRBlocks: 18
; NumSGPRsForWavesPerEU: 34
; NumVGPRsForWavesPerEU: 150
; Occupancy: 9
; WaveLimiterHint : 1
; COMPUTE_PGM_RSRC2:SCRATCH_EN: 0
; COMPUTE_PGM_RSRC2:USER_SGPR: 2
; COMPUTE_PGM_RSRC2:TRAP_HANDLER: 0
; COMPUTE_PGM_RSRC2:TGID_X_EN: 1
; COMPUTE_PGM_RSRC2:TGID_Y_EN: 0
; COMPUTE_PGM_RSRC2:TGID_Z_EN: 0
; COMPUTE_PGM_RSRC2:TIDIG_COMP_CNT: 0
	.text
	.p2alignl 7, 3214868480
	.fill 96, 4, 3214868480
	.type	__hip_cuid_512ae42c202243ce,@object ; @__hip_cuid_512ae42c202243ce
	.section	.bss,"aw",@nobits
	.globl	__hip_cuid_512ae42c202243ce
__hip_cuid_512ae42c202243ce:
	.byte	0                               ; 0x0
	.size	__hip_cuid_512ae42c202243ce, 1

	.ident	"AMD clang version 19.0.0git (https://github.com/RadeonOpenCompute/llvm-project roc-6.4.0 25133 c7fe45cf4b819c5991fe208aaa96edf142730f1d)"
	.section	".note.GNU-stack","",@progbits
	.addrsig
	.addrsig_sym __hip_cuid_512ae42c202243ce
	.amdgpu_metadata
---
amdhsa.kernels:
  - .args:
      - .actual_access:  read_only
        .address_space:  global
        .offset:         0
        .size:           8
        .value_kind:     global_buffer
      - .offset:         8
        .size:           8
        .value_kind:     by_value
      - .actual_access:  read_only
        .address_space:  global
        .offset:         16
        .size:           8
        .value_kind:     global_buffer
      - .actual_access:  read_only
        .address_space:  global
        .offset:         24
        .size:           8
        .value_kind:     global_buffer
      - .offset:         32
        .size:           8
        .value_kind:     by_value
      - .actual_access:  read_only
        .address_space:  global
        .offset:         40
        .size:           8
        .value_kind:     global_buffer
      - .actual_access:  read_only
        .address_space:  global
        .offset:         48
        .size:           8
        .value_kind:     global_buffer
      - .offset:         56
        .size:           4
        .value_kind:     by_value
      - .actual_access:  read_only
        .address_space:  global
        .offset:         64
        .size:           8
        .value_kind:     global_buffer
      - .actual_access:  read_only
        .address_space:  global
        .offset:         72
        .size:           8
        .value_kind:     global_buffer
      - .address_space:  global
        .offset:         80
        .size:           8
        .value_kind:     global_buffer
    .group_segment_fixed_size: 0
    .kernarg_segment_align: 8
    .kernarg_segment_size: 88
    .language:       OpenCL C
    .language_version:
      - 2
      - 0
    .max_flat_workgroup_size: 119
    .name:           fft_rtc_back_len102_factors_17_6_wgs_119_tpt_17_halfLds_half_ip_CI_unitstride_sbrr_C2R_dirReg
    .private_segment_fixed_size: 0
    .sgpr_count:     34
    .sgpr_spill_count: 0
    .symbol:         fft_rtc_back_len102_factors_17_6_wgs_119_tpt_17_halfLds_half_ip_CI_unitstride_sbrr_C2R_dirReg.kd
    .uniform_work_group_size: 1
    .uses_dynamic_stack: false
    .vgpr_count:     150
    .vgpr_spill_count: 0
    .wavefront_size: 32
    .workgroup_processor_mode: 1
amdhsa.target:   amdgcn-amd-amdhsa--gfx1201
amdhsa.version:
  - 1
  - 2
...

	.end_amdgpu_metadata
